;; amdgpu-corpus repo=ROCm/rocFFT kind=compiled arch=gfx906 opt=O3
	.text
	.amdgcn_target "amdgcn-amd-amdhsa--gfx906"
	.amdhsa_code_object_version 6
	.protected	fft_rtc_fwd_len343_factors_7_7_7_wgs_245_tpt_49_sp_op_CI_CI_sbrc_z_xy_diag_dirReg ; -- Begin function fft_rtc_fwd_len343_factors_7_7_7_wgs_245_tpt_49_sp_op_CI_CI_sbrc_z_xy_diag_dirReg
	.globl	fft_rtc_fwd_len343_factors_7_7_7_wgs_245_tpt_49_sp_op_CI_CI_sbrc_z_xy_diag_dirReg
	.p2align	8
	.type	fft_rtc_fwd_len343_factors_7_7_7_wgs_245_tpt_49_sp_op_CI_CI_sbrc_z_xy_diag_dirReg,@function
fft_rtc_fwd_len343_factors_7_7_7_wgs_245_tpt_49_sp_op_CI_CI_sbrc_z_xy_diag_dirReg: ; @fft_rtc_fwd_len343_factors_7_7_7_wgs_245_tpt_49_sp_op_CI_CI_sbrc_z_xy_diag_dirReg
; %bb.0:
	s_load_dwordx8 s[8:15], s[4:5], 0x0
	v_add_u16_e32 v7, 0x1ea, v0
	v_mul_u32_u24_e32 v8, 0x2fd, v7
	v_lshrrev_b32_e32 v23, 18, v8
	v_mul_lo_u16_e32 v8, 0x157, v23
	s_waitcnt lgkmcnt(0)
	s_load_dwordx4 s[0:3], s[12:13], 0x8
	s_load_dwordx4 s[16:19], s[14:15], 0x0
	s_waitcnt lgkmcnt(0)
	s_load_dword s3, s[14:15], 0x10
	s_mov_b32 s13, 0
	v_sub_u16_e32 v24, v7, v8
	s_add_i32 s0, s0, -1
	s_mul_hi_u32 s0, s0, 0xcccccccd
	s_lshr_b32 s0, s0, 2
	s_add_i32 s0, s0, 1
	s_mul_i32 s2, s0, s2
	v_cvt_f32_u32_e32 v1, s2
	v_rcp_iflag_f32_e32 v1, v1
	v_mul_f32_e32 v1, 0x4f7ffffe, v1
	v_cvt_u32_f32_e32 v3, v1
	v_mad_u64_u32 v[1:2], s[0:1], s16, v0, 0
	s_sub_i32 s0, 0, s2
	v_readfirstlane_b32 s1, v3
	s_mul_i32 s0, s0, s1
	s_mul_hi_u32 s0, s1, s0
	s_add_i32 s1, s1, s0
	s_mul_hi_u32 s0, s6, s1
	s_mul_i32 s1, s0, s2
	s_sub_i32 s1, s6, s1
	s_add_i32 s7, s0, 1
	s_sub_i32 s12, s1, s2
	s_cmp_ge_u32 s1, s2
	s_cselect_b32 s0, s7, s0
	s_cselect_b32 s1, s12, s1
	s_add_i32 s7, s0, 1
	s_cmp_ge_u32 s1, s2
	s_cselect_b32 s19, s7, s0
	s_mul_i32 s0, s19, s2
	s_sub_i32 s0, s6, s0
	s_mul_hi_u32 s1, s0, 0x5397829d
	s_lshr_b32 s1, s1, 4
	s_mul_i32 s2, s1, 49
	s_sub_i32 s21, s0, s2
	s_add_i32 s1, s1, s21
	s_mul_hi_u32 s0, s1, 0xbf112a8b
	s_lshr_b32 s0, s0, 8
	s_mulk_i32 s0, 0x157
	s_mul_i32 s21, s21, 5
	s_sub_i32 s20, s1, s0
	s_mul_i32 s2, s21, s18
	s_waitcnt lgkmcnt(0)
	s_mul_i32 s0, s20, s3
	s_lshl_b64 s[10:11], s[10:11], 3
	s_add_i32 s12, s0, s2
	s_add_u32 s6, s14, s10
	s_addc_u32 s7, s15, s11
	s_load_dwordx2 s[22:23], s[6:7], 0x0
	s_load_dwordx4 s[0:3], s[4:5], 0x58
	s_load_dwordx2 s[14:15], s[4:5], 0x20
	v_mad_u64_u32 v[2:3], s[4:5], s17, v0, v[2:3]
	s_waitcnt lgkmcnt(0)
	s_mul_i32 s4, s23, s19
	s_mul_hi_u32 s5, s22, s19
	s_add_i32 s5, s5, s4
	s_add_u32 s6, s14, s10
	s_addc_u32 s7, s15, s11
	s_load_dwordx2 s[10:11], s[6:7], 0x0
	v_add_u16_e32 v3, 0xf5, v0
	s_mul_i32 s4, s22, s19
	v_mul_u32_u24_e32 v4, 0x17f, v3
	s_lshl_b64 s[4:5], s[4:5], 3
	s_waitcnt lgkmcnt(0)
	s_mul_i32 s6, s11, s19
	s_mul_hi_u32 s7, s10, s19
	s_add_i32 s11, s7, s6
	v_lshrrev_b32_e32 v21, 17, v4
	s_add_u32 s4, s0, s4
	v_mul_lo_u16_e32 v4, 0x157, v21
	s_addc_u32 s6, s1, s5
	s_lshl_b64 s[0:1], s[12:13], 3
	v_sub_u16_e32 v22, v3, v4
	s_add_u32 s0, s4, s0
	v_mad_u64_u32 v[3:4], s[4:5], s16, v22, 0
	v_lshlrev_b64 v[1:2], 3, v[1:2]
	s_addc_u32 s1, s6, s1
	v_mad_u64_u32 v[4:5], s[4:5], s17, v22, v[4:5]
	v_add_co_u32_e32 v5, vcc, s0, v1
	v_mul_lo_u32 v1, s18, v21
	v_mad_u64_u32 v[7:8], s[4:5], s16, v24, 0
	v_mov_b32_e32 v6, s1
	v_lshlrev_b64 v[3:4], 3, v[3:4]
	v_addc_co_u32_e32 v6, vcc, v6, v2, vcc
	v_mov_b32_e32 v2, 0
	v_mov_b32_e32 v9, s1
	v_add_co_u32_e32 v10, vcc, s0, v3
	v_addc_co_u32_e32 v11, vcc, v9, v4, vcc
	v_lshlrev_b64 v[3:4], 3, v[1:2]
	v_mov_b32_e32 v1, v8
	v_mad_u64_u32 v[8:9], s[4:5], s17, v24, v[1:2]
	v_add_u16_e32 v9, 0x2df, v0
	v_add_co_u32_e32 v3, vcc, v10, v3
	v_mul_u32_u24_e32 v10, 0x2fd, v9
	v_lshrrev_b32_e32 v25, 18, v10
	v_mul_lo_u16_e32 v10, 0x157, v25
	v_sub_u16_e32 v26, v9, v10
	v_mul_lo_u32 v1, s18, v23
	v_mad_u64_u32 v[9:10], s[4:5], s16, v26, 0
	v_lshlrev_b64 v[7:8], 3, v[7:8]
	v_addc_co_u32_e32 v4, vcc, v11, v4, vcc
	v_mov_b32_e32 v11, s1
	v_add_co_u32_e32 v12, vcc, s0, v7
	v_addc_co_u32_e32 v13, vcc, v11, v8, vcc
	v_lshlrev_b64 v[7:8], 3, v[1:2]
	v_mov_b32_e32 v1, v10
	v_mad_u64_u32 v[10:11], s[4:5], s17, v26, v[1:2]
	v_add_u16_e32 v11, 0x3d4, v0
	v_add_co_u32_e32 v7, vcc, v12, v7
	v_mul_u32_u24_e32 v12, 0x5f9, v11
	v_lshrrev_b32_e32 v27, 19, v12
	v_mul_lo_u16_e32 v12, 0x157, v27
	v_sub_u16_e32 v28, v11, v12
	v_mul_lo_u32 v1, s18, v25
	v_mad_u64_u32 v[11:12], s[4:5], s16, v28, 0
	v_lshlrev_b64 v[9:10], 3, v[9:10]
	v_addc_co_u32_e32 v8, vcc, v13, v8, vcc
	;; [unrolled: 16-line block ×3, first 2 shown]
	v_mov_b32_e32 v15, s1
	v_add_co_u32_e32 v16, vcc, s0, v11
	v_addc_co_u32_e32 v17, vcc, v15, v12, vcc
	v_lshlrev_b64 v[11:12], 3, v[1:2]
	v_mov_b32_e32 v1, v14
	v_mad_u64_u32 v[14:15], s[4:5], s17, v30, v[1:2]
	v_mul_lo_u32 v1, s18, v29
	v_add_co_u32_e32 v11, vcc, v16, v11
	v_lshlrev_b64 v[13:14], 3, v[13:14]
	v_addc_co_u32_e32 v12, vcc, v17, v12, vcc
	v_mov_b32_e32 v15, s1
	v_add_co_u32_e32 v17, vcc, s0, v13
	v_addc_co_u32_e32 v18, vcc, v15, v14, vcc
	v_lshlrev_b64 v[13:14], 3, v[1:2]
	v_add_u16_e32 v1, 0x5be, v0
	v_mul_u32_u24_e32 v15, 0x5f9, v1
	v_lshrrev_b32_e32 v31, 19, v15
	v_mul_lo_u16_e32 v15, 0x157, v31
	v_sub_u16_e32 v32, v1, v15
	v_mad_u64_u32 v[15:16], s[4:5], s16, v32, 0
	v_add_co_u32_e32 v13, vcc, v17, v13
	v_mov_b32_e32 v1, v16
	global_load_dwordx2 v[5:6], v[5:6], off
	v_mad_u64_u32 v[16:17], s[4:5], s17, v32, v[1:2]
	global_load_dwordx2 v[7:8], v[7:8], off
	v_mul_lo_u32 v1, s18, v31
	global_load_dwordx2 v[9:10], v[9:10], off
	v_lshlrev_b64 v[15:16], 3, v[15:16]
	global_load_dwordx2 v[3:4], v[3:4], off
	v_addc_co_u32_e32 v14, vcc, v18, v14, vcc
	v_mov_b32_e32 v17, s1
	v_add_co_u32_e32 v33, vcc, s0, v15
	v_addc_co_u32_e32 v34, vcc, v17, v16, vcc
	v_lshlrev_b64 v[15:16], 3, v[1:2]
	global_load_dwordx2 v[17:18], v[11:12], off
	global_load_dwordx2 v[19:20], v[13:14], off
	v_add_co_u32_e32 v11, vcc, v33, v15
	v_addc_co_u32_e32 v12, vcc, v34, v16, vcc
	global_load_dwordx2 v[11:12], v[11:12], off
	v_mul_lo_u16_e32 v1, 5, v0
	v_lshl_add_u32 v1, v1, 3, 0
	s_mov_b32 s1, 0xbf3bfb3b
	s_movk_i32 s12, 0xf0
	s_mul_i32 s10, s10, s19
	s_waitcnt vmcnt(6)
	ds_write_b64 v1, v[5:6]
	v_mad_legacy_u16 v1, v22, 5, v21
	v_lshl_add_u32 v1, v1, 3, 0
	s_waitcnt vmcnt(3)
	ds_write_b64 v1, v[3:4]
	v_mad_legacy_u16 v1, v24, 5, v23
	v_lshl_add_u32 v1, v1, 3, 0
	v_mad_legacy_u16 v3, v26, 5, v25
	ds_write_b64 v1, v[7:8]
	v_lshl_add_u32 v3, v3, 3, 0
	s_load_dwordx4 s[4:7], s[14:15], 0x0
	s_load_dword s0, s[14:15], 0x10
	ds_write_b64 v3, v[9:10]
	v_mad_legacy_u16 v3, v28, 5, v27
	v_lshl_add_u32 v3, v3, 3, 0
	v_mul_u32_u24_e32 v1, 0x3334, v0
	s_waitcnt vmcnt(2)
	ds_write_b64 v3, v[17:18]
	v_mad_legacy_u16 v3, v30, 5, v29
	v_lshrrev_b32_e32 v6, 16, v1
	v_lshl_add_u32 v3, v3, 3, 0
	v_mul_lo_u16_e32 v1, 5, v6
	s_waitcnt vmcnt(1)
	ds_write_b64 v3, v[19:20]
	v_mad_legacy_u16 v3, v32, 5, v31
	v_sub_u16_e32 v1, v0, v1
	v_lshl_add_u32 v3, v3, 3, 0
	s_waitcnt vmcnt(0)
	ds_write_b64 v3, v[11:12]
	v_mul_u32_u24_e32 v3, 40, v6
	v_lshlrev_b32_e32 v25, 3, v1
	v_add3_u32 v3, 0, v3, v25
	v_add_u32_e32 v4, 0xf00, v3
	v_add_u32_e32 v5, 0x1e80, v3
	s_waitcnt lgkmcnt(0)
	s_barrier
	ds_read2_b64 v[7:10], v4 offset0:10 offset1:255
	ds_read2_b64 v[11:14], v5 offset0:4 offset1:249
	s_mov_b32 s7, 0x3f5ff5aa
	v_mad_u32_u24 v32, v6, s12, v3
	s_mov_b32 s14, 0x3f3bfb3b
	s_mov_b32 s12, 0xbeae86e6
	s_waitcnt lgkmcnt(0)
	v_add_f32_e32 v17, v7, v13
	v_add_f32_e32 v18, v8, v14
	v_sub_f32_e32 v19, v7, v13
	v_sub_f32_e32 v20, v8, v14
	ds_read_b64 v[7:8], v3 offset:11760
	ds_read2_b64 v[13:16], v3 offset1:245
	v_add_f32_e32 v21, v9, v11
	v_sub_f32_e32 v9, v11, v9
	v_add_f32_e32 v22, v10, v12
	v_sub_f32_e32 v10, v12, v10
	s_waitcnt lgkmcnt(0)
	v_add_f32_e32 v11, v15, v7
	v_add_f32_e32 v12, v16, v8
	v_sub_f32_e32 v15, v15, v7
	v_add_f32_e32 v7, v17, v11
	v_add_f32_e32 v23, v21, v7
	v_add_f32_e32 v7, v18, v12
	v_add_f32_e32 v24, v22, v7
	v_sub_f32_e32 v16, v16, v8
	v_add_f32_e32 v7, v23, v13
	v_add_f32_e32 v8, v24, v14
	v_sub_f32_e32 v13, v17, v11
	v_sub_f32_e32 v11, v11, v21
	v_sub_f32_e32 v14, v21, v17
	v_add_f32_e32 v21, v9, v19
	v_sub_f32_e32 v17, v18, v12
	v_sub_f32_e32 v12, v12, v22
	;; [unrolled: 1-line block ×6, first 2 shown]
	v_add_f32_e32 v15, v21, v15
	v_add_f32_e32 v9, v10, v20
	v_sub_f32_e32 v21, v10, v20
	v_mov_b32_e32 v28, v7
	v_sub_f32_e32 v27, v16, v10
	v_sub_f32_e32 v20, v20, v16
	v_add_f32_e32 v16, v9, v16
	v_fmac_f32_e32 v28, 0xbf955555, v23
	v_mov_b32_e32 v23, v8
	v_mul_f32_e32 v9, 0x3f4a47b2, v11
	v_mul_f32_e32 v10, 0x3f4a47b2, v12
	;; [unrolled: 1-line block ×4, first 2 shown]
	v_fmac_f32_e32 v23, 0xbf955555, v24
	v_fma_f32 v11, v13, s1, -v9
	v_fmac_f32_e32 v9, 0x3d64c772, v14
	v_fma_f32 v12, v17, s1, -v10
	v_fmac_f32_e32 v10, 0x3d64c772, v18
	v_fma_f32 v24, v19, s7, -v22
	v_fmac_f32_e32 v22, 0x3eae86e6, v26
	v_fma_f32 v29, v20, s7, -v21
	v_fmac_f32_e32 v21, 0x3eae86e6, v27
	v_add_f32_e32 v30, v9, v28
	v_add_f32_e32 v31, v10, v23
	v_fmac_f32_e32 v22, 0x3ee1c552, v15
	v_fmac_f32_e32 v21, 0x3ee1c552, v16
	v_add_f32_e32 v9, v30, v21
	v_sub_f32_e32 v10, v31, v22
	s_barrier
	ds_write2_b64 v32, v[7:8], v[9:10] offset1:5
	v_mul_f32_e32 v7, 0x3d64c772, v14
	v_fma_f32 v7, v13, s14, -v7
	v_mul_f32_e32 v13, 0x3f5ff5aa, v19
	v_mul_f32_e32 v8, 0x3d64c772, v18
	v_fma_f32 v14, v26, s12, -v13
	v_mul_f32_e32 v13, 0x3f5ff5aa, v20
	v_fma_f32 v8, v17, s14, -v8
	v_fma_f32 v13, v27, s12, -v13
	v_add_f32_e32 v9, v7, v28
	v_add_f32_e32 v10, v8, v23
	v_fmac_f32_e32 v24, 0x3ee1c552, v15
	v_fmac_f32_e32 v29, 0x3ee1c552, v16
	v_add_f32_e32 v17, v11, v28
	v_add_f32_e32 v18, v12, v23
	v_fmac_f32_e32 v14, 0x3ee1c552, v15
	v_fmac_f32_e32 v13, 0x3ee1c552, v16
	v_sub_f32_e32 v7, v9, v29
	v_add_f32_e32 v8, v24, v10
	v_add_f32_e32 v11, v13, v17
	v_sub_f32_e32 v12, v18, v14
	v_add_f32_e32 v9, v29, v9
	v_sub_f32_e32 v10, v10, v24
	v_sub_f32_e32 v13, v17, v13
	v_add_f32_e32 v14, v14, v18
	v_sub_f32_e32 v15, v30, v21
	v_add_f32_e32 v16, v22, v31
	ds_write2_b64 v32, v[11:12], v[7:8] offset0:10 offset1:15
	ds_write2_b64 v32, v[9:10], v[13:14] offset0:20 offset1:25
	ds_write_b64 v32, v[15:16] offset:240
	v_mul_lo_u16_e32 v7, 37, v6
	v_lshrrev_b16_e32 v26, 8, v7
	v_mul_lo_u16_e32 v7, 7, v26
	v_sub_u16_e32 v7, v6, v7
	v_and_b32_e32 v27, 0xff, v7
	v_mul_u32_u24_e32 v7, 6, v27
	v_lshlrev_b32_e32 v19, 3, v7
	s_waitcnt lgkmcnt(0)
	s_barrier
	global_load_dwordx4 v[7:10], v19, s[8:9] offset:32
	global_load_dwordx4 v[11:14], v19, s[8:9] offset:16
	global_load_dwordx4 v[15:18], v19, s[8:9]
	ds_read_b64 v[23:24], v3 offset:11760
	ds_read2_b64 v[19:22], v5 offset0:4 offset1:249
	v_add_co_u32_e32 v1, vcc, s21, v1
	v_mul_u32_u24_e32 v0, 0x10c, v0
	s_waitcnt vmcnt(2) lgkmcnt(1)
	v_mul_f32_e32 v28, v10, v24
	v_fma_f32 v28, v9, v23, -v28
	v_mul_f32_e32 v23, v10, v23
	v_fmac_f32_e32 v23, v9, v24
	s_waitcnt lgkmcnt(0)
	v_mul_f32_e32 v9, v8, v22
	v_fma_f32 v24, v7, v21, -v9
	v_mul_f32_e32 v21, v8, v21
	v_fmac_f32_e32 v21, v7, v22
	s_waitcnt vmcnt(1)
	v_mul_f32_e32 v7, v14, v20
	v_fma_f32 v22, v13, v19, -v7
	ds_read2_b64 v[7:10], v4 offset0:10 offset1:255
	v_mul_f32_e32 v14, v14, v19
	v_fmac_f32_e32 v14, v13, v20
	s_waitcnt lgkmcnt(0)
	v_mul_f32_e32 v13, v12, v10
	v_fma_f32 v13, v11, v9, -v13
	v_mul_f32_e32 v12, v12, v9
	s_waitcnt vmcnt(0)
	v_mul_f32_e32 v9, v18, v8
	v_mul_f32_e32 v18, v18, v7
	v_fmac_f32_e32 v12, v11, v10
	v_fma_f32 v11, v17, v7, -v9
	v_fmac_f32_e32 v18, v17, v8
	ds_read2_b64 v[7:10], v3 offset1:245
	v_add_f32_e32 v29, v18, v21
	v_add_f32_e32 v30, v12, v14
	v_sub_f32_e32 v18, v18, v21
	v_sub_f32_e32 v12, v14, v12
	s_waitcnt lgkmcnt(0)
	v_mul_f32_e32 v17, v16, v10
	v_fma_f32 v17, v15, v9, -v17
	v_mul_f32_e32 v9, v16, v9
	v_fmac_f32_e32 v9, v15, v10
	v_add_f32_e32 v10, v17, v28
	v_add_f32_e32 v15, v11, v24
	;; [unrolled: 1-line block ×3, first 2 shown]
	v_sub_f32_e32 v11, v11, v24
	v_sub_f32_e32 v13, v22, v13
	v_add_f32_e32 v19, v15, v10
	v_add_f32_e32 v20, v9, v23
	v_sub_f32_e32 v17, v17, v28
	v_add_f32_e32 v22, v13, v11
	v_add_f32_e32 v19, v16, v19
	;; [unrolled: 1-line block ×3, first 2 shown]
	v_sub_f32_e32 v9, v9, v23
	v_sub_f32_e32 v23, v13, v11
	;; [unrolled: 1-line block ×4, first 2 shown]
	v_add_f32_e32 v17, v22, v17
	v_add_f32_e32 v22, v12, v18
	;; [unrolled: 1-line block ×4, first 2 shown]
	v_sub_f32_e32 v24, v12, v18
	v_sub_f32_e32 v12, v9, v12
	;; [unrolled: 1-line block ×3, first 2 shown]
	v_add_f32_e32 v22, v22, v9
	v_mad_u32_u24 v9, v26, 49, v27
	v_add_f32_e32 v8, v31, v8
	v_sub_f32_e32 v14, v15, v10
	v_sub_f32_e32 v10, v10, v16
	;; [unrolled: 1-line block ×5, first 2 shown]
	v_mov_b32_e32 v28, v7
	v_mul_u32_u24_e32 v9, 40, v9
	v_sub_f32_e32 v21, v30, v29
	v_fmac_f32_e32 v28, 0xbf955555, v19
	v_mov_b32_e32 v19, v8
	v_add3_u32 v25, 0, v9, v25
	v_mul_f32_e32 v9, 0x3f4a47b2, v10
	v_mul_f32_e32 v10, 0x3f4a47b2, v20
	v_mul_f32_e32 v20, 0xbf08b237, v23
	v_mul_f32_e32 v23, 0xbf08b237, v24
	v_fmac_f32_e32 v19, 0xbf955555, v31
	v_fma_f32 v24, v14, s1, -v9
	v_fmac_f32_e32 v9, 0x3d64c772, v15
	v_fma_f32 v26, v16, s1, -v10
	;; [unrolled: 2-line block ×4, first 2 shown]
	v_fmac_f32_e32 v23, 0x3eae86e6, v12
	v_add_f32_e32 v30, v9, v28
	v_add_f32_e32 v31, v10, v19
	v_fmac_f32_e32 v20, 0x3ee1c552, v17
	v_fmac_f32_e32 v23, 0x3ee1c552, v22
	v_add_f32_e32 v9, v23, v30
	v_sub_f32_e32 v10, v31, v20
	s_barrier
	ds_write2_b64 v25, v[7:8], v[9:10] offset1:35
	v_mul_f32_e32 v7, 0x3d64c772, v15
	v_mul_f32_e32 v11, 0x3f5ff5aa, v11
	v_fma_f32 v7, v14, s14, -v7
	v_mul_f32_e32 v8, 0x3d64c772, v21
	v_fma_f32 v14, v13, s12, -v11
	;; [unrolled: 2-line block ×3, first 2 shown]
	v_fma_f32 v13, v12, s12, -v11
	v_add_f32_e32 v9, v7, v28
	v_add_f32_e32 v10, v8, v19
	v_fmac_f32_e32 v27, 0x3ee1c552, v17
	v_fmac_f32_e32 v29, 0x3ee1c552, v22
	v_add_f32_e32 v15, v24, v28
	v_add_f32_e32 v16, v26, v19
	v_fmac_f32_e32 v14, 0x3ee1c552, v17
	v_fmac_f32_e32 v13, 0x3ee1c552, v22
	v_sub_f32_e32 v7, v9, v29
	v_add_f32_e32 v8, v27, v10
	v_add_f32_e32 v11, v13, v15
	v_sub_f32_e32 v12, v16, v14
	v_add_f32_e32 v9, v29, v9
	v_sub_f32_e32 v10, v10, v27
	v_sub_f32_e32 v13, v15, v13
	v_add_f32_e32 v14, v14, v16
	v_sub_f32_e32 v15, v30, v23
	v_add_f32_e32 v16, v20, v31
	ds_write2_b64 v25, v[11:12], v[7:8] offset0:70 offset1:105
	ds_write2_b64 v25, v[9:10], v[13:14] offset0:140 offset1:175
	ds_write_b64 v25, v[15:16] offset:1680
	v_mul_lo_u16_e32 v7, 21, v6
	v_lshrrev_b16_e32 v7, 10, v7
	v_mul_lo_u16_e32 v7, 49, v7
	v_sub_u16_e32 v24, v6, v7
	v_mov_b32_e32 v6, 6
	v_mul_u32_u24_sdwa v6, v24, v6 dst_sel:DWORD dst_unused:UNUSED_PAD src0_sel:BYTE_0 src1_sel:DWORD
	v_lshlrev_b32_e32 v18, 3, v6
	s_waitcnt lgkmcnt(0)
	s_barrier
	global_load_dwordx4 v[6:9], v18, s[8:9] offset:368
	global_load_dwordx4 v[10:13], v18, s[8:9] offset:352
	;; [unrolled: 1-line block ×3, first 2 shown]
	ds_read_b64 v[22:23], v3 offset:11760
	ds_read2_b64 v[18:21], v5 offset0:4 offset1:249
	s_waitcnt vmcnt(2) lgkmcnt(1)
	v_mul_f32_e32 v5, v9, v23
	v_fma_f32 v25, v8, v22, -v5
	v_mul_f32_e32 v22, v9, v22
	s_waitcnt lgkmcnt(0)
	v_mul_f32_e32 v5, v7, v21
	v_fmac_f32_e32 v22, v8, v23
	v_fma_f32 v23, v6, v20, -v5
	v_mul_f32_e32 v20, v7, v20
	v_fmac_f32_e32 v20, v6, v21
	ds_read2_b64 v[4:7], v4 offset0:10 offset1:255
	s_waitcnt vmcnt(1)
	v_mul_f32_e32 v8, v13, v19
	v_fma_f32 v21, v12, v18, -v8
	v_mul_f32_e32 v13, v13, v18
	v_fmac_f32_e32 v13, v12, v19
	s_waitcnt lgkmcnt(0)
	v_mul_f32_e32 v8, v11, v7
	v_mul_f32_e32 v11, v11, v6
	v_fma_f32 v12, v10, v6, -v8
	v_fmac_f32_e32 v11, v10, v7
	ds_read2_b64 v[6:9], v3 offset1:245
	s_waitcnt vmcnt(0)
	v_mul_f32_e32 v3, v17, v5
	v_fma_f32 v10, v16, v4, -v3
	v_mul_f32_e32 v17, v17, v4
	v_fmac_f32_e32 v17, v16, v5
	s_waitcnt lgkmcnt(0)
	v_mul_f32_e32 v3, v15, v9
	v_fma_f32 v5, v14, v8, -v3
	v_mul_f32_e32 v8, v15, v8
	v_fmac_f32_e32 v8, v14, v9
	v_add_f32_e32 v9, v5, v25
	v_add_f32_e32 v14, v10, v23
	;; [unrolled: 1-line block ×12, first 2 shown]
	v_sub_f32_e32 v25, v5, v25
	v_sub_f32_e32 v22, v8, v22
	;; [unrolled: 1-line block ×6, first 2 shown]
	v_mov_b32_e32 v13, v3
	v_fmac_f32_e32 v13, 0xbf955555, v16
	v_mov_b32_e32 v16, v4
	v_sub_f32_e32 v12, v14, v9
	v_add_f32_e32 v7, v10, v5
	v_sub_f32_e32 v8, v10, v5
	v_sub_f32_e32 v20, v5, v25
	v_add_f32_e32 v5, v11, v6
	v_sub_f32_e32 v23, v6, v22
	v_sub_f32_e32 v9, v9, v15
	v_fmac_f32_e32 v16, 0xbf955555, v27
	v_sub_f32_e32 v14, v15, v14
	v_sub_f32_e32 v17, v19, v18
	;; [unrolled: 1-line block ×3, first 2 shown]
	v_add_f32_e32 v27, v7, v25
	v_add_f32_e32 v28, v5, v22
	v_mul_f32_e32 v29, 0xbf08b237, v8
	v_sub_f32_e32 v15, v18, v26
	v_sub_f32_e32 v18, v25, v10
	;; [unrolled: 1-line block ×3, first 2 shown]
	v_mul_f32_e32 v25, 0x3f4a47b2, v9
	v_mul_f32_e32 v10, 0x3f5ff5aa, v23
	v_sub_f32_e32 v21, v11, v6
	v_mul_f32_e32 v5, 0x3d64c772, v14
	v_mul_f32_e32 v6, 0x3d64c772, v19
	v_fma_f32 v30, v20, s7, -v29
	v_mul_f32_e32 v15, 0x3f4a47b2, v15
	v_mul_f32_e32 v9, 0x3f5ff5aa, v20
	v_fma_f32 v11, v12, s1, -v25
	v_fma_f32 v20, v22, s12, -v10
	;; [unrolled: 1-line block ×5, first 2 shown]
	v_add_f32_e32 v11, v11, v13
	v_fmac_f32_e32 v20, 0x3ee1c552, v28
	v_fmac_f32_e32 v25, 0x3d64c772, v14
	v_fmac_f32_e32 v15, 0x3d64c772, v19
	v_addc_co_u32_e64 v14, s[8:9], 0, 0, vcc
	v_add_f32_e32 v8, v6, v16
	v_fma_f32 v17, v18, s12, -v9
	v_add_f32_e32 v12, v12, v16
	v_add_f32_e32 v9, v20, v11
	v_sub_f32_e32 v11, v11, v20
	v_fmac_f32_e32 v29, 0x3eae86e6, v18
	v_add_f32_e32 v18, v15, v16
	v_mul_lo_u32 v19, v14, s4
	v_mul_lo_u32 v20, v1, s5
	v_mad_u64_u32 v[15:16], s[4:5], v1, s4, 0
	s_movk_i32 s1, 0x157
	v_mul_lo_u16_sdwa v0, v0, s1 dst_sel:DWORD dst_unused:UNUSED_PAD src0_sel:WORD_1 src1_sel:DWORD
	s_lshl_b64 s[4:5], s[10:11], 3
	s_mul_i32 s12, s20, s6
	v_add_u32_sdwa v0, v24, v0 dst_sel:DWORD dst_unused:UNUSED_PAD src0_sel:BYTE_0 src1_sel:DWORD
	s_add_u32 s1, s2, s4
	v_add3_u32 v16, v16, v20, v19
	v_mul_lo_u32 v1, v0, s0
	s_addc_u32 s4, s3, s5
	s_lshl_b64 s[2:3], s[12:13], 3
	s_add_u32 s1, s1, s2
	v_lshlrev_b64 v[15:16], 3, v[15:16]
	s_addc_u32 s2, s4, s3
	v_mov_b32_e32 v0, s2
	v_add_co_u32_e32 v19, vcc, s1, v15
	v_addc_co_u32_e32 v20, vcc, v0, v16, vcc
	v_lshlrev_b64 v[15:16], 3, v[1:2]
	s_mul_i32 s0, s0, 49
	v_add_co_u32_e32 v15, vcc, v19, v15
	v_addc_co_u32_e32 v16, vcc, v20, v16, vcc
	v_add_u32_e32 v1, s0, v1
	v_mul_f32_e32 v21, 0xbf08b237, v21
	global_store_dwordx2 v[15:16], v[3:4], off
	v_lshlrev_b64 v[3:4], 3, v[1:2]
	v_fma_f32 v31, v23, s7, -v21
	v_fmac_f32_e32 v17, 0x3ee1c552, v27
	v_fmac_f32_e32 v21, 0x3eae86e6, v22
	v_sub_f32_e32 v10, v12, v17
	v_add_f32_e32 v12, v17, v12
	v_add_f32_e32 v17, v25, v13
	v_fmac_f32_e32 v29, 0x3ee1c552, v27
	v_fmac_f32_e32 v21, 0x3ee1c552, v28
	v_add_co_u32_e32 v3, vcc, v19, v3
	v_add_f32_e32 v7, v5, v13
	v_add_f32_e32 v13, v21, v17
	v_sub_f32_e32 v14, v18, v29
	v_addc_co_u32_e32 v4, vcc, v20, v4, vcc
	v_add_u32_e32 v1, s0, v1
	global_store_dwordx2 v[3:4], v[13:14], off
	v_lshlrev_b64 v[3:4], 3, v[1:2]
	v_add_u32_e32 v1, s0, v1
	v_add_co_u32_e32 v3, vcc, v19, v3
	v_addc_co_u32_e32 v4, vcc, v20, v4, vcc
	global_store_dwordx2 v[3:4], v[9:10], off
	v_lshlrev_b64 v[3:4], 3, v[1:2]
	v_fmac_f32_e32 v30, 0x3ee1c552, v27
	v_fmac_f32_e32 v31, 0x3ee1c552, v28
	v_add_co_u32_e32 v3, vcc, v19, v3
	v_sub_f32_e32 v5, v7, v31
	v_add_f32_e32 v6, v30, v8
	v_addc_co_u32_e32 v4, vcc, v20, v4, vcc
	v_add_u32_e32 v1, s0, v1
	global_store_dwordx2 v[3:4], v[5:6], off
	v_lshlrev_b64 v[3:4], 3, v[1:2]
	v_add_f32_e32 v7, v31, v7
	v_add_co_u32_e32 v3, vcc, v19, v3
	v_sub_f32_e32 v8, v8, v30
	v_addc_co_u32_e32 v4, vcc, v20, v4, vcc
	v_add_u32_e32 v1, s0, v1
	global_store_dwordx2 v[3:4], v[7:8], off
	v_lshlrev_b64 v[3:4], 3, v[1:2]
	v_add_u32_e32 v1, s0, v1
	v_add_co_u32_e32 v3, vcc, v19, v3
	v_lshlrev_b64 v[0:1], 3, v[1:2]
	v_addc_co_u32_e32 v4, vcc, v20, v4, vcc
	v_add_co_u32_e32 v0, vcc, v19, v0
	v_sub_f32_e32 v17, v17, v21
	v_add_f32_e32 v18, v29, v18
	v_addc_co_u32_e32 v1, vcc, v20, v1, vcc
	global_store_dwordx2 v[3:4], v[11:12], off
	global_store_dwordx2 v[0:1], v[17:18], off
	s_endpgm
	.section	.rodata,"a",@progbits
	.p2align	6, 0x0
	.amdhsa_kernel fft_rtc_fwd_len343_factors_7_7_7_wgs_245_tpt_49_sp_op_CI_CI_sbrc_z_xy_diag_dirReg
		.amdhsa_group_segment_fixed_size 0
		.amdhsa_private_segment_fixed_size 0
		.amdhsa_kernarg_size 104
		.amdhsa_user_sgpr_count 6
		.amdhsa_user_sgpr_private_segment_buffer 1
		.amdhsa_user_sgpr_dispatch_ptr 0
		.amdhsa_user_sgpr_queue_ptr 0
		.amdhsa_user_sgpr_kernarg_segment_ptr 1
		.amdhsa_user_sgpr_dispatch_id 0
		.amdhsa_user_sgpr_flat_scratch_init 0
		.amdhsa_user_sgpr_private_segment_size 0
		.amdhsa_uses_dynamic_stack 0
		.amdhsa_system_sgpr_private_segment_wavefront_offset 0
		.amdhsa_system_sgpr_workgroup_id_x 1
		.amdhsa_system_sgpr_workgroup_id_y 0
		.amdhsa_system_sgpr_workgroup_id_z 0
		.amdhsa_system_sgpr_workgroup_info 0
		.amdhsa_system_vgpr_workitem_id 0
		.amdhsa_next_free_vgpr 35
		.amdhsa_next_free_sgpr 24
		.amdhsa_reserve_vcc 1
		.amdhsa_reserve_flat_scratch 0
		.amdhsa_float_round_mode_32 0
		.amdhsa_float_round_mode_16_64 0
		.amdhsa_float_denorm_mode_32 3
		.amdhsa_float_denorm_mode_16_64 3
		.amdhsa_dx10_clamp 1
		.amdhsa_ieee_mode 1
		.amdhsa_fp16_overflow 0
		.amdhsa_exception_fp_ieee_invalid_op 0
		.amdhsa_exception_fp_denorm_src 0
		.amdhsa_exception_fp_ieee_div_zero 0
		.amdhsa_exception_fp_ieee_overflow 0
		.amdhsa_exception_fp_ieee_underflow 0
		.amdhsa_exception_fp_ieee_inexact 0
		.amdhsa_exception_int_div_zero 0
	.end_amdhsa_kernel
	.text
.Lfunc_end0:
	.size	fft_rtc_fwd_len343_factors_7_7_7_wgs_245_tpt_49_sp_op_CI_CI_sbrc_z_xy_diag_dirReg, .Lfunc_end0-fft_rtc_fwd_len343_factors_7_7_7_wgs_245_tpt_49_sp_op_CI_CI_sbrc_z_xy_diag_dirReg
                                        ; -- End function
	.section	.AMDGPU.csdata,"",@progbits
; Kernel info:
; codeLenInByte = 3572
; NumSgprs: 28
; NumVgprs: 35
; ScratchSize: 0
; MemoryBound: 0
; FloatMode: 240
; IeeeMode: 1
; LDSByteSize: 0 bytes/workgroup (compile time only)
; SGPRBlocks: 3
; VGPRBlocks: 8
; NumSGPRsForWavesPerEU: 28
; NumVGPRsForWavesPerEU: 35
; Occupancy: 7
; WaveLimiterHint : 1
; COMPUTE_PGM_RSRC2:SCRATCH_EN: 0
; COMPUTE_PGM_RSRC2:USER_SGPR: 6
; COMPUTE_PGM_RSRC2:TRAP_HANDLER: 0
; COMPUTE_PGM_RSRC2:TGID_X_EN: 1
; COMPUTE_PGM_RSRC2:TGID_Y_EN: 0
; COMPUTE_PGM_RSRC2:TGID_Z_EN: 0
; COMPUTE_PGM_RSRC2:TIDIG_COMP_CNT: 0
	.type	__hip_cuid_4c3d9b715246d68b,@object ; @__hip_cuid_4c3d9b715246d68b
	.section	.bss,"aw",@nobits
	.globl	__hip_cuid_4c3d9b715246d68b
__hip_cuid_4c3d9b715246d68b:
	.byte	0                               ; 0x0
	.size	__hip_cuid_4c3d9b715246d68b, 1

	.ident	"AMD clang version 19.0.0git (https://github.com/RadeonOpenCompute/llvm-project roc-6.4.0 25133 c7fe45cf4b819c5991fe208aaa96edf142730f1d)"
	.section	".note.GNU-stack","",@progbits
	.addrsig
	.addrsig_sym __hip_cuid_4c3d9b715246d68b
	.amdgpu_metadata
---
amdhsa.kernels:
  - .args:
      - .actual_access:  read_only
        .address_space:  global
        .offset:         0
        .size:           8
        .value_kind:     global_buffer
      - .offset:         8
        .size:           8
        .value_kind:     by_value
      - .actual_access:  read_only
        .address_space:  global
        .offset:         16
        .size:           8
        .value_kind:     global_buffer
      - .actual_access:  read_only
        .address_space:  global
        .offset:         24
        .size:           8
        .value_kind:     global_buffer
      - .actual_access:  read_only
        .address_space:  global
        .offset:         32
        .size:           8
        .value_kind:     global_buffer
      - .offset:         40
        .size:           8
        .value_kind:     by_value
      - .actual_access:  read_only
        .address_space:  global
        .offset:         48
        .size:           8
        .value_kind:     global_buffer
      - .actual_access:  read_only
        .address_space:  global
        .offset:         56
        .size:           8
        .value_kind:     global_buffer
      - .offset:         64
        .size:           4
        .value_kind:     by_value
      - .actual_access:  read_only
        .address_space:  global
        .offset:         72
        .size:           8
        .value_kind:     global_buffer
      - .actual_access:  read_only
        .address_space:  global
        .offset:         80
        .size:           8
        .value_kind:     global_buffer
      - .actual_access:  read_only
        .address_space:  global
        .offset:         88
        .size:           8
        .value_kind:     global_buffer
      - .actual_access:  write_only
        .address_space:  global
        .offset:         96
        .size:           8
        .value_kind:     global_buffer
    .group_segment_fixed_size: 0
    .kernarg_segment_align: 8
    .kernarg_segment_size: 104
    .language:       OpenCL C
    .language_version:
      - 2
      - 0
    .max_flat_workgroup_size: 245
    .name:           fft_rtc_fwd_len343_factors_7_7_7_wgs_245_tpt_49_sp_op_CI_CI_sbrc_z_xy_diag_dirReg
    .private_segment_fixed_size: 0
    .sgpr_count:     28
    .sgpr_spill_count: 0
    .symbol:         fft_rtc_fwd_len343_factors_7_7_7_wgs_245_tpt_49_sp_op_CI_CI_sbrc_z_xy_diag_dirReg.kd
    .uniform_work_group_size: 1
    .uses_dynamic_stack: false
    .vgpr_count:     35
    .vgpr_spill_count: 0
    .wavefront_size: 64
amdhsa.target:   amdgcn-amd-amdhsa--gfx906
amdhsa.version:
  - 1
  - 2
...

	.end_amdgpu_metadata
